;; amdgpu-corpus repo=zjin-lcf/HeCBench kind=compiled arch=gfx906 opt=O3
	.amdgcn_target "amdgcn-amd-amdhsa--gfx906"
	.amdhsa_code_object_version 6
	.text
	.protected	_Z15test_keystreamsPKcS0_S0_PKhPhS3_S3_S3_iii ; -- Begin function _Z15test_keystreamsPKcS0_S0_PKhPhS3_S3_S3_iii
	.globl	_Z15test_keystreamsPKcS0_S0_PKhPhS3_S3_S3_iii
	.p2align	8
	.type	_Z15test_keystreamsPKcS0_S0_PKhPhS3_S3_S3_iii,@function
_Z15test_keystreamsPKcS0_S0_PKhPhS3_S3_S3_iii: ; @_Z15test_keystreamsPKcS0_S0_PKhPhS3_S3_S3_iii
; %bb.0:
	s_load_dwordx4 s[16:19], s[4:5], 0x40
	s_load_dwordx4 s[12:15], s[4:5], 0x18
	s_load_dwordx2 s[20:21], s[4:5], 0x28
	s_add_u32 s0, s0, s7
	s_addc_u32 s1, s1, 0
	s_waitcnt lgkmcnt(0)
	s_lshr_b32 s6, s16, 31
	s_add_i32 s6, s16, s6
	s_ashr_i32 s16, s6, 1
	v_mov_b32_e32 v6, v0
	v_cmp_gt_i32_e32 vcc, s16, v0
	v_add_u32_e32 v1, 1, v0
	s_and_saveexec_b64 s[22:23], vcc
	s_cbranch_execz .LBB0_8
; %bb.1:
	s_load_dword s6, s[4:5], 0x5c
	s_load_dwordx2 s[24:25], s[4:5], 0x0
	v_max_i32_e32 v2, s16, v1
	v_sub_u32_e32 v7, v2, v0
	v_cmp_lt_u32_e32 vcc, 3, v7
	s_waitcnt lgkmcnt(0)
	s_and_b32 s19, s6, 0xffff
	s_cmp_eq_u32 s19, 1
	s_cselect_b64 s[6:7], -1, 0
	s_and_b64 s[8:9], vcc, s[6:7]
	s_mov_b64 s[6:7], -1
	v_mov_b32_e32 v4, v6
	s_and_saveexec_b64 s[26:27], s[8:9]
	s_cbranch_execz .LBB0_5
; %bb.2:
	v_add_u32_e32 v3, 3, v0
	v_add_u32_e32 v2, 2, v0
	v_and_b32_e32 v8, -4, v7
	v_mov_b32_e32 v5, v3
	s_mov_b64 s[28:29], 0
	v_mov_b32_e32 v9, s25
	s_mov_b32 s30, 0x5040100
	v_mov_b32_e32 v10, s13
	v_mov_b32_e32 v11, v6
	;; [unrolled: 1-line block ×6, first 2 shown]
.LBB0_3:                                ; =>This Inner Loop Header: Depth=1
	v_lshlrev_b32_e32 v13, 1, v2
	v_add_co_u32_e32 v13, vcc, s24, v13
	v_lshlrev_b32_e32 v15, 1, v3
	v_addc_co_u32_e32 v14, vcc, 0, v9, vcc
	v_add_co_u32_e32 v15, vcc, s24, v15
	v_lshlrev_b32_e32 v17, 1, v4
	v_addc_co_u32_e32 v16, vcc, 0, v9, vcc
	v_add_co_u32_e32 v17, vcc, s24, v17
	v_lshlrev_b32_e32 v19, 1, v5
	v_addc_co_u32_e32 v18, vcc, 0, v9, vcc
	v_add_co_u32_e32 v19, vcc, s24, v19
	v_addc_co_u32_e32 v20, vcc, 0, v9, vcc
	global_load_ushort v21, v[13:14], off
	global_load_ushort v22, v[17:18], off
	;; [unrolled: 1-line block ×4, first 2 shown]
	v_add_u32_e32 v12, -4, v12
	v_add_u32_e32 v5, 4, v5
	v_add_u32_e32 v4, 4, v4
	;; [unrolled: 1-line block ×4, first 2 shown]
	s_waitcnt vmcnt(3)
	v_lshrrev_b16_e32 v15, 8, v21
	s_waitcnt vmcnt(2)
	v_lshrrev_b16_e32 v16, 8, v22
	s_waitcnt vmcnt(1)
	v_perm_b32 v13, v23, v22, s30
	s_waitcnt vmcnt(0)
	v_perm_b32 v14, v24, v21, s30
	v_bfe_i32 v17, v13, 0, 8
	v_lshrrev_b32_e32 v18, 16, v14
	v_bfe_i32 v19, v14, 0, 8
	v_bfe_i32 v16, v16, 0, 8
	;; [unrolled: 1-line block ×3, first 2 shown]
	v_lshrrev_b32_e32 v20, 16, v13
	v_lshrrev_b32_e32 v14, 24, v14
	;; [unrolled: 1-line block ×3, first 2 shown]
	v_ashrrev_i32_e32 v22, 31, v17
	v_bfe_i32 v24, v18, 0, 8
	v_ashrrev_i32_e32 v18, 31, v19
	v_ashrrev_i32_e32 v23, 31, v16
	v_ashrrev_i32_e32 v25, 31, v15
	v_add_co_u32_e32 v13, vcc, s12, v17
	v_add_co_u32_e64 v15, s[6:7], s12, v15
	v_add_co_u32_e64 v17, s[8:9], s12, v16
	;; [unrolled: 1-line block ×3, first 2 shown]
	v_bfe_i32 v26, v20, 0, 8
	v_bfe_i32 v27, v14, 0, 8
	;; [unrolled: 1-line block ×3, first 2 shown]
	v_addc_co_u32_e64 v20, s[10:11], v10, v18, s[10:11]
	v_addc_co_u32_e32 v14, vcc, v10, v22, vcc
	v_addc_co_u32_e64 v16, vcc, v10, v25, s[6:7]
	v_addc_co_u32_e64 v18, vcc, v10, v23, s[8:9]
	v_ashrrev_i32_e32 v22, 31, v24
	v_ashrrev_i32_e32 v29, 31, v26
	v_add_co_u32_e32 v21, vcc, s12, v26
	v_ashrrev_i32_e32 v26, 31, v27
	v_add_co_u32_e64 v23, s[6:7], s12, v27
	v_ashrrev_i32_e32 v30, 31, v28
	v_add_co_u32_e64 v25, s[8:9], s12, v28
	v_add_co_u32_e64 v27, s[10:11], s12, v24
	v_addc_co_u32_e64 v28, s[10:11], v10, v22, s[10:11]
	v_addc_co_u32_e32 v22, vcc, v10, v29, vcc
	v_addc_co_u32_e64 v24, vcc, v10, v26, s[6:7]
	v_addc_co_u32_e64 v26, vcc, v10, v30, s[8:9]
	global_load_ubyte v29, v[19:20], off
	global_load_ubyte v30, v[13:14], off
	;; [unrolled: 1-line block ×3, first 2 shown]
                                        ; kill: killed $vgpr23 killed $vgpr24
                                        ; kill: killed $vgpr13 killed $vgpr14
                                        ; kill: killed $vgpr19 killed $vgpr20
	s_nop 0
	global_load_ubyte v13, v[21:22], off
	global_load_ubyte v14, v[17:18], off
	;; [unrolled: 1-line block ×5, first 2 shown]
	v_cmp_eq_u32_e32 vcc, 0, v12
	s_or_b64 s[28:29], vcc, s[28:29]
	s_waitcnt vmcnt(7)
	v_lshlrev_b16_e32 v15, 4, v29
	s_waitcnt vmcnt(6)
	v_lshlrev_b16_e32 v16, 4, v30
	v_and_b32_e32 v15, 0xf0, v15
	s_waitcnt vmcnt(5)
	v_lshlrev_b16_e32 v17, 8, v31
	v_and_b32_e32 v16, 0xf0, v16
	s_waitcnt vmcnt(4)
	v_lshlrev_b16_e32 v13, 12, v13
	s_waitcnt vmcnt(3)
	v_or_b32_e32 v14, v14, v16
	s_waitcnt vmcnt(2)
	v_or_b32_e32 v15, v19, v15
	s_waitcnt vmcnt(1)
	v_lshlrev_b16_e32 v18, 12, v20
	s_waitcnt vmcnt(0)
	v_lshlrev_b16_e32 v20, 8, v23
	v_or_b32_e32 v17, v18, v17
	v_or_b32_e32 v13, v13, v20
	;; [unrolled: 1-line block ×3, first 2 shown]
	v_or_b32_sdwa v13, v14, v13 dst_sel:WORD_1 dst_unused:UNUSED_PAD src0_sel:DWORD src1_sel:DWORD
	v_or_b32_sdwa v13, v15, v13 dst_sel:DWORD dst_unused:UNUSED_PAD src0_sel:WORD_0 src1_sel:DWORD
	global_store_dword v11, v13, s[14:15]
	v_add_u32_e32 v11, 4, v11
	s_andn2_b64 exec, exec, s[28:29]
	s_cbranch_execnz .LBB0_3
; %bb.4:
	s_or_b64 exec, exec, s[28:29]
	v_cmp_ne_u32_e32 vcc, v7, v8
	v_add_u32_e32 v4, v0, v8
	s_orn2_b64 s[6:7], vcc, exec
.LBB0_5:
	s_or_b64 exec, exec, s[26:27]
	s_and_b64 exec, exec, s[6:7]
	s_cbranch_execz .LBB0_8
; %bb.6:
	v_lshlrev_b32_e32 v2, 1, v4
	v_mov_b32_e32 v3, s25
	v_add_co_u32_e32 v2, vcc, s24, v2
	v_addc_co_u32_e32 v3, vcc, 0, v3, vcc
	v_add_co_u32_e32 v2, vcc, 1, v2
	v_mov_b32_e32 v5, 0
	v_addc_co_u32_e32 v3, vcc, 0, v3, vcc
	s_lshl_b32 s8, s19, 1
	s_mov_b64 s[6:7], 0
	v_mov_b32_e32 v7, s13
	v_mov_b32_e32 v8, s15
.LBB0_7:                                ; =>This Inner Loop Header: Depth=1
	global_load_ushort v9, v[2:3], off offset:-1
	s_waitcnt vmcnt(0)
	v_lshrrev_b16_e32 v10, 8, v9
	v_bfe_i32 v9, v9, 0, 8
	v_ashrrev_i32_e32 v11, 31, v9
	v_add_co_u32_e32 v9, vcc, s12, v9
	v_bfe_i32 v12, v10, 0, 8
	v_addc_co_u32_e32 v10, vcc, v7, v11, vcc
	v_ashrrev_i32_e32 v13, 31, v12
	v_add_co_u32_e32 v11, vcc, s12, v12
	v_addc_co_u32_e32 v12, vcc, v7, v13, vcc
	global_load_ubyte v13, v[9:10], off
	global_load_ubyte v14, v[11:12], off
	v_add_co_u32_e32 v9, vcc, s14, v4
	v_addc_co_u32_e32 v10, vcc, v8, v5, vcc
	v_add_co_u32_e32 v4, vcc, s19, v4
	v_addc_co_u32_e32 v5, vcc, 0, v5, vcc
	v_add_co_u32_e32 v2, vcc, s8, v2
	v_addc_co_u32_e32 v3, vcc, 0, v3, vcc
	v_cmp_le_i32_e32 vcc, s16, v4
	s_or_b64 s[6:7], vcc, s[6:7]
	s_waitcnt vmcnt(1)
	v_lshlrev_b16_e32 v11, 4, v13
	s_waitcnt vmcnt(0)
	v_or_b32_e32 v11, v14, v11
	global_store_byte v[9:10], v11, off
	s_andn2_b64 exec, exec, s[6:7]
	s_cbranch_execnz .LBB0_7
.LBB0_8:
	s_or_b64 exec, exec, s[22:23]
	s_lshr_b32 s6, s17, 31
	s_add_i32 s6, s17, s6
	s_ashr_i32 s19, s6, 1
	v_cmp_gt_i32_e32 vcc, s19, v0
	s_and_saveexec_b64 s[16:17], vcc
	s_cbranch_execz .LBB0_16
; %bb.9:
	s_load_dword s6, s[4:5], 0x5c
	s_load_dwordx2 s[22:23], s[4:5], 0x8
	v_max_i32_e32 v2, s19, v1
	v_sub_u32_e32 v7, v2, v0
	v_cmp_lt_u32_e32 vcc, 3, v7
	s_waitcnt lgkmcnt(0)
	s_and_b32 s28, s6, 0xffff
	s_cmp_eq_u32 s28, 1
	s_cselect_b64 s[6:7], -1, 0
	s_and_b64 s[8:9], vcc, s[6:7]
	s_mov_b64 s[6:7], -1
	v_mov_b32_e32 v4, v6
	s_and_saveexec_b64 s[24:25], s[8:9]
	s_cbranch_execz .LBB0_13
; %bb.10:
	v_add_u32_e32 v3, 3, v0
	v_add_u32_e32 v2, 2, v0
	v_and_b32_e32 v8, -4, v7
	v_mov_b32_e32 v5, v3
	s_mov_b64 s[26:27], 0
	v_mov_b32_e32 v9, s23
	s_mov_b32 s29, 0x5040100
	v_mov_b32_e32 v10, s13
	v_mov_b32_e32 v11, v6
	;; [unrolled: 1-line block ×6, first 2 shown]
.LBB0_11:                               ; =>This Inner Loop Header: Depth=1
	v_lshlrev_b32_e32 v13, 1, v2
	v_add_co_u32_e32 v13, vcc, s22, v13
	v_lshlrev_b32_e32 v15, 1, v3
	v_addc_co_u32_e32 v14, vcc, 0, v9, vcc
	v_add_co_u32_e32 v15, vcc, s22, v15
	v_lshlrev_b32_e32 v17, 1, v4
	v_addc_co_u32_e32 v16, vcc, 0, v9, vcc
	;; [unrolled: 3-line block ×3, first 2 shown]
	v_add_co_u32_e32 v19, vcc, s22, v19
	v_addc_co_u32_e32 v20, vcc, 0, v9, vcc
	global_load_ushort v21, v[13:14], off
	global_load_ushort v22, v[17:18], off
	;; [unrolled: 1-line block ×4, first 2 shown]
	v_add_u32_e32 v12, -4, v12
	v_add_u32_e32 v5, 4, v5
	v_add_u32_e32 v4, 4, v4
	;; [unrolled: 1-line block ×4, first 2 shown]
	s_waitcnt vmcnt(3)
	v_lshrrev_b16_e32 v15, 8, v21
	s_waitcnt vmcnt(2)
	v_lshrrev_b16_e32 v16, 8, v22
	s_waitcnt vmcnt(1)
	v_perm_b32 v13, v23, v22, s29
	s_waitcnt vmcnt(0)
	v_perm_b32 v14, v24, v21, s29
	v_lshrrev_b32_e32 v17, 16, v13
	v_bfe_i32 v18, v13, 0, 8
	v_bfe_i32 v20, v14, 0, 8
	;; [unrolled: 1-line block ×3, first 2 shown]
	v_lshrrev_b32_e32 v19, 16, v14
	v_lshrrev_b32_e32 v14, 24, v14
	;; [unrolled: 1-line block ×3, first 2 shown]
	v_bfe_i32 v16, v16, 0, 8
	v_bfe_i32 v23, v17, 0, 8
	v_ashrrev_i32_e32 v24, 31, v18
	v_ashrrev_i32_e32 v25, 31, v20
	v_add_co_u32_e32 v13, vcc, s12, v20
	v_add_co_u32_e64 v15, s[6:7], s12, v18
	v_ashrrev_i32_e32 v18, 31, v22
	v_add_co_u32_e64 v17, s[8:9], s12, v22
	v_bfe_i32 v26, v19, 0, 8
	v_bfe_i32 v20, v14, 0, 8
	v_ashrrev_i32_e32 v28, 31, v16
	v_add_co_u32_e64 v19, s[10:11], s12, v16
	v_addc_co_u32_e32 v14, vcc, v10, v25, vcc
	v_addc_co_u32_e64 v16, vcc, v10, v24, s[6:7]
	v_addc_co_u32_e64 v18, s[6:7], v10, v18, s[8:9]
	v_bfe_i32 v27, v21, 0, 8
	v_ashrrev_i32_e32 v22, 31, v23
	v_add_co_u32_e32 v21, vcc, s12, v23
	v_ashrrev_i32_e32 v24, 31, v20
	v_add_co_u32_e64 v23, s[6:7], s12, v20
	v_addc_co_u32_e64 v20, s[8:9], v10, v28, s[10:11]
	v_ashrrev_i32_e32 v29, 31, v26
	v_ashrrev_i32_e32 v30, 31, v27
	v_add_co_u32_e64 v25, s[8:9], s12, v27
	v_add_co_u32_e64 v27, s[10:11], s12, v26
	v_addc_co_u32_e64 v28, s[10:11], v10, v29, s[10:11]
	v_addc_co_u32_e32 v22, vcc, v10, v22, vcc
	v_addc_co_u32_e64 v24, vcc, v10, v24, s[6:7]
	v_addc_co_u32_e64 v26, vcc, v10, v30, s[8:9]
	global_load_ubyte v29, v[13:14], off
	global_load_ubyte v30, v[15:16], off
	;; [unrolled: 1-line block ×3, first 2 shown]
                                        ; kill: killed $vgpr23 killed $vgpr24
                                        ; kill: killed $vgpr15 killed $vgpr16
                                        ; kill: killed $vgpr13 killed $vgpr14
	s_nop 0
	global_load_ubyte v13, v[21:22], off
	global_load_ubyte v14, v[19:20], off
	;; [unrolled: 1-line block ×5, first 2 shown]
	v_cmp_eq_u32_e32 vcc, 0, v12
	s_or_b64 s[26:27], vcc, s[26:27]
	s_waitcnt vmcnt(7)
	v_lshlrev_b16_e32 v17, 4, v29
	s_waitcnt vmcnt(6)
	v_lshlrev_b16_e32 v18, 4, v30
	v_and_b32_e32 v17, 0xf0, v17
	s_waitcnt vmcnt(5)
	v_lshlrev_b16_e32 v19, 8, v31
	v_and_b32_e32 v18, 0xf0, v18
	s_waitcnt vmcnt(4)
	v_lshlrev_b16_e32 v13, 12, v13
	s_waitcnt vmcnt(3)
	v_or_b32_e32 v14, v14, v18
	s_waitcnt vmcnt(2)
	v_or_b32_e32 v15, v15, v17
	s_waitcnt vmcnt(1)
	v_lshlrev_b16_e32 v16, 12, v16
	s_waitcnt vmcnt(0)
	v_lshlrev_b16_e32 v20, 8, v23
	v_or_b32_e32 v16, v16, v19
	v_or_b32_e32 v13, v13, v20
	;; [unrolled: 1-line block ×3, first 2 shown]
	v_or_b32_sdwa v13, v14, v13 dst_sel:WORD_1 dst_unused:UNUSED_PAD src0_sel:DWORD src1_sel:DWORD
	v_or_b32_sdwa v13, v15, v13 dst_sel:DWORD dst_unused:UNUSED_PAD src0_sel:WORD_0 src1_sel:DWORD
	global_store_dword v11, v13, s[20:21]
	v_add_u32_e32 v11, 4, v11
	s_andn2_b64 exec, exec, s[26:27]
	s_cbranch_execnz .LBB0_11
; %bb.12:
	s_or_b64 exec, exec, s[26:27]
	v_cmp_ne_u32_e32 vcc, v7, v8
	v_add_u32_e32 v4, v0, v8
	s_orn2_b64 s[6:7], vcc, exec
.LBB0_13:
	s_or_b64 exec, exec, s[24:25]
	s_and_b64 exec, exec, s[6:7]
	s_cbranch_execz .LBB0_16
; %bb.14:
	v_lshlrev_b32_e32 v2, 1, v4
	v_mov_b32_e32 v3, s23
	v_add_co_u32_e32 v2, vcc, s22, v2
	v_addc_co_u32_e32 v3, vcc, 0, v3, vcc
	v_add_co_u32_e32 v2, vcc, 1, v2
	v_mov_b32_e32 v5, 0
	v_addc_co_u32_e32 v3, vcc, 0, v3, vcc
	s_lshl_b32 s8, s28, 1
	s_mov_b64 s[6:7], 0
	v_mov_b32_e32 v7, s13
	v_mov_b32_e32 v8, s21
.LBB0_15:                               ; =>This Inner Loop Header: Depth=1
	global_load_ushort v9, v[2:3], off offset:-1
	s_waitcnt vmcnt(0)
	v_lshrrev_b16_e32 v10, 8, v9
	v_bfe_i32 v9, v9, 0, 8
	v_ashrrev_i32_e32 v11, 31, v9
	v_add_co_u32_e32 v9, vcc, s12, v9
	v_bfe_i32 v12, v10, 0, 8
	v_addc_co_u32_e32 v10, vcc, v7, v11, vcc
	v_ashrrev_i32_e32 v13, 31, v12
	v_add_co_u32_e32 v11, vcc, s12, v12
	v_addc_co_u32_e32 v12, vcc, v7, v13, vcc
	global_load_ubyte v13, v[9:10], off
	global_load_ubyte v14, v[11:12], off
	v_add_co_u32_e32 v9, vcc, s20, v4
	v_addc_co_u32_e32 v10, vcc, v8, v5, vcc
	v_add_co_u32_e32 v4, vcc, s28, v4
	v_addc_co_u32_e32 v5, vcc, 0, v5, vcc
	;; [unrolled: 2-line block ×3, first 2 shown]
	v_cmp_le_i32_e32 vcc, s19, v4
	s_or_b64 s[6:7], vcc, s[6:7]
	s_waitcnt vmcnt(1)
	v_lshlrev_b16_e32 v11, 4, v13
	s_waitcnt vmcnt(0)
	v_or_b32_e32 v11, v14, v11
	global_store_byte v[9:10], v11, off
	s_andn2_b64 exec, exec, s[6:7]
	s_cbranch_execnz .LBB0_15
.LBB0_16:
	s_or_b64 exec, exec, s[16:17]
	s_lshr_b32 s6, s18, 31
	s_add_i32 s6, s18, s6
	s_ashr_i32 s16, s6, 1
	v_cmp_gt_i32_e32 vcc, s16, v0
	s_and_saveexec_b64 s[22:23], vcc
	s_cbranch_execz .LBB0_24
; %bb.17:
	s_load_dword s6, s[4:5], 0x5c
	s_load_dwordx2 s[26:27], s[4:5], 0x10
	s_load_dwordx2 s[24:25], s[4:5], 0x30
	v_max_i32_e32 v2, s16, v1
	v_sub_u32_e32 v5, v2, v0
	s_waitcnt lgkmcnt(0)
	s_and_b32 s17, s6, 0xffff
	s_cmp_eq_u32 s17, 1
	v_cmp_lt_u32_e32 vcc, 3, v5
	s_cselect_b64 s[6:7], -1, 0
	s_and_b64 s[8:9], vcc, s[6:7]
	s_mov_b64 s[6:7], -1
	s_and_saveexec_b64 s[28:29], s[8:9]
	s_cbranch_execz .LBB0_21
; %bb.18:
	v_add_u32_e32 v3, 3, v0
	v_add_u32_e32 v2, 2, v0
	v_and_b32_e32 v7, -4, v5
	v_mov_b32_e32 v4, v3
	s_mov_b64 s[30:31], 0
	v_mov_b32_e32 v8, s27
	s_mov_b32 s19, 0x5040100
	v_mov_b32_e32 v9, s13
	v_mov_b32_e32 v10, v7
	v_mov_b32_e32 v3, v2
	v_mov_b32_e32 v2, v1
	v_mov_b32_e32 v1, v0
.LBB0_19:                               ; =>This Inner Loop Header: Depth=1
	v_lshlrev_b32_e32 v11, 1, v1
	v_add_co_u32_e32 v11, vcc, s26, v11
	v_lshlrev_b32_e32 v13, 1, v2
	v_addc_co_u32_e32 v12, vcc, 0, v8, vcc
	v_add_co_u32_e32 v13, vcc, s26, v13
	v_lshlrev_b32_e32 v15, 1, v3
	v_addc_co_u32_e32 v14, vcc, 0, v8, vcc
	v_add_co_u32_e32 v15, vcc, s26, v15
	v_lshlrev_b32_e32 v17, 1, v4
	v_addc_co_u32_e32 v16, vcc, 0, v8, vcc
	v_add_co_u32_e32 v17, vcc, s26, v17
	v_addc_co_u32_e32 v18, vcc, 0, v8, vcc
	global_load_ushort v19, v[11:12], off
	global_load_ushort v20, v[15:16], off
	;; [unrolled: 1-line block ×4, first 2 shown]
	v_add_u32_e32 v10, -4, v10
	v_add_u32_e32 v4, 4, v4
	v_add_u32_e32 v3, 4, v3
	;; [unrolled: 1-line block ×4, first 2 shown]
	s_waitcnt vmcnt(3)
	v_lshrrev_b16_e32 v13, 8, v19
	s_waitcnt vmcnt(2)
	v_lshrrev_b16_e32 v14, 8, v20
	s_waitcnt vmcnt(1)
	v_perm_b32 v11, v21, v20, s19
	s_waitcnt vmcnt(0)
	v_perm_b32 v12, v22, v19, s19
	v_lshrrev_b32_e32 v15, 16, v11
	v_bfe_i32 v16, v11, 0, 8
	v_bfe_i32 v18, v12, 0, 8
	;; [unrolled: 1-line block ×3, first 2 shown]
	v_lshrrev_b32_e32 v17, 16, v12
	v_lshrrev_b32_e32 v12, 24, v12
	;; [unrolled: 1-line block ×3, first 2 shown]
	v_bfe_i32 v14, v14, 0, 8
	v_bfe_i32 v21, v15, 0, 8
	v_ashrrev_i32_e32 v22, 31, v16
	v_ashrrev_i32_e32 v23, 31, v18
	v_add_co_u32_e32 v11, vcc, s12, v18
	v_add_co_u32_e64 v13, s[6:7], s12, v16
	v_ashrrev_i32_e32 v16, 31, v20
	v_add_co_u32_e64 v15, s[8:9], s12, v20
	v_bfe_i32 v24, v17, 0, 8
	v_bfe_i32 v18, v12, 0, 8
	v_ashrrev_i32_e32 v26, 31, v14
	v_add_co_u32_e64 v17, s[10:11], s12, v14
	v_addc_co_u32_e32 v12, vcc, v9, v23, vcc
	v_addc_co_u32_e64 v14, vcc, v9, v22, s[6:7]
	v_addc_co_u32_e64 v16, s[6:7], v9, v16, s[8:9]
	v_bfe_i32 v25, v19, 0, 8
	v_ashrrev_i32_e32 v20, 31, v21
	v_add_co_u32_e32 v19, vcc, s12, v21
	v_ashrrev_i32_e32 v22, 31, v18
	v_add_co_u32_e64 v21, s[6:7], s12, v18
	v_addc_co_u32_e64 v18, s[8:9], v9, v26, s[10:11]
	v_ashrrev_i32_e32 v27, 31, v24
	v_ashrrev_i32_e32 v28, 31, v25
	v_add_co_u32_e64 v23, s[8:9], s12, v25
	v_add_co_u32_e64 v25, s[10:11], s12, v24
	v_addc_co_u32_e64 v26, s[10:11], v9, v27, s[10:11]
	v_addc_co_u32_e32 v20, vcc, v9, v20, vcc
	v_addc_co_u32_e64 v22, vcc, v9, v22, s[6:7]
	v_addc_co_u32_e64 v24, vcc, v9, v28, s[8:9]
	global_load_ubyte v27, v[11:12], off
	global_load_ubyte v28, v[13:14], off
	;; [unrolled: 1-line block ×5, first 2 shown]
                                        ; kill: killed $vgpr19 killed $vgpr20
                                        ; kill: killed $vgpr21 killed $vgpr22
                                        ; kill: killed $vgpr13 killed $vgpr14
                                        ; kill: killed $vgpr11 killed $vgpr12
                                        ; kill: killed $vgpr17 killed $vgpr18
	s_nop 0
	global_load_ubyte v11, v[15:16], off
	global_load_ubyte v12, v[25:26], off
	;; [unrolled: 1-line block ×3, first 2 shown]
	v_cmp_eq_u32_e32 vcc, 0, v10
	s_or_b64 s[30:31], vcc, s[30:31]
	s_waitcnt vmcnt(7)
	v_lshlrev_b16_e32 v14, 4, v27
	s_waitcnt vmcnt(6)
	v_lshlrev_b16_e32 v15, 4, v28
	v_and_b32_e32 v14, 0xf0, v14
	s_waitcnt vmcnt(5)
	v_lshlrev_b16_e32 v16, 8, v29
	s_waitcnt vmcnt(4)
	v_lshlrev_b16_e32 v17, 12, v30
	v_and_b32_e32 v15, 0xf0, v15
	s_waitcnt vmcnt(2)
	v_or_b32_e32 v11, v11, v14
	s_waitcnt vmcnt(1)
	v_lshlrev_b16_e32 v12, 12, v12
	s_waitcnt vmcnt(0)
	v_lshlrev_b16_e32 v13, 8, v13
	v_or_b32_e32 v12, v12, v16
	v_or_b32_e32 v13, v17, v13
	;; [unrolled: 1-line block ×4, first 2 shown]
	v_or_b32_sdwa v12, v14, v13 dst_sel:WORD_1 dst_unused:UNUSED_PAD src0_sel:DWORD src1_sel:DWORD
	v_or_b32_sdwa v11, v11, v12 dst_sel:DWORD dst_unused:UNUSED_PAD src0_sel:WORD_0 src1_sel:DWORD
	global_store_dword v6, v11, s[24:25]
	v_add_u32_e32 v6, 4, v6
	s_andn2_b64 exec, exec, s[30:31]
	s_cbranch_execnz .LBB0_19
; %bb.20:
	s_or_b64 exec, exec, s[30:31]
	v_cmp_ne_u32_e32 vcc, v5, v7
	v_add_u32_e32 v6, v0, v7
	s_orn2_b64 s[6:7], vcc, exec
.LBB0_21:
	s_or_b64 exec, exec, s[28:29]
	s_and_b64 exec, exec, s[6:7]
	s_cbranch_execz .LBB0_24
; %bb.22:
	v_lshlrev_b32_e32 v1, 1, v6
	v_mov_b32_e32 v2, s27
	v_add_co_u32_e32 v1, vcc, s26, v1
	v_addc_co_u32_e32 v2, vcc, 0, v2, vcc
	v_add_co_u32_e32 v1, vcc, 1, v1
	v_mov_b32_e32 v3, 0
	v_addc_co_u32_e32 v2, vcc, 0, v2, vcc
	s_lshl_b32 s8, s17, 1
	s_mov_b64 s[6:7], 0
	v_mov_b32_e32 v4, s13
	v_mov_b32_e32 v5, s25
.LBB0_23:                               ; =>This Inner Loop Header: Depth=1
	global_load_ushort v7, v[1:2], off offset:-1
	s_waitcnt vmcnt(0)
	v_lshrrev_b16_e32 v8, 8, v7
	v_bfe_i32 v7, v7, 0, 8
	v_ashrrev_i32_e32 v9, 31, v7
	v_add_co_u32_e32 v7, vcc, s12, v7
	v_bfe_i32 v10, v8, 0, 8
	v_addc_co_u32_e32 v8, vcc, v4, v9, vcc
	v_ashrrev_i32_e32 v11, 31, v10
	v_add_co_u32_e32 v9, vcc, s12, v10
	v_addc_co_u32_e32 v10, vcc, v4, v11, vcc
	global_load_ubyte v11, v[7:8], off
	global_load_ubyte v12, v[9:10], off
	v_add_co_u32_e32 v7, vcc, s24, v6
	v_addc_co_u32_e32 v8, vcc, v5, v3, vcc
	v_add_co_u32_e32 v6, vcc, s17, v6
	v_addc_co_u32_e32 v3, vcc, 0, v3, vcc
	;; [unrolled: 2-line block ×3, first 2 shown]
	v_cmp_le_i32_e32 vcc, s16, v6
	s_or_b64 s[6:7], vcc, s[6:7]
	s_waitcnt vmcnt(1)
	v_lshlrev_b16_e32 v9, 4, v11
	s_waitcnt vmcnt(0)
	v_or_b32_e32 v9, v12, v9
	global_store_byte v[7:8], v9, off
	s_andn2_b64 exec, exec, s[6:7]
	s_cbranch_execnz .LBB0_23
.LBB0_24:
	s_or_b64 exec, exec, s[22:23]
	v_cmp_eq_u32_e32 vcc, 0, v0
	s_and_saveexec_b64 s[6:7], vcc
	s_cbranch_execz .LBB0_32
; %bb.25:
	s_add_i32 s6, s18, 1
	v_mov_b32_e32 v10, 0
	v_mov_b32_e32 v0, 64
	s_cmp_lt_u32 s6, 3
	buffer_store_dword v10, off, s[0:3], 0 offset:132
	buffer_store_dword v0, off, s[0:3], 0 offset:128
	s_cbranch_scc1 .LBB0_32
; %bb.26:
	global_load_dwordx4 v[0:3], v10, s[14:15]
	global_load_dwordx2 v[8:9], v10, s[20:21]
	global_load_dwordx4 v[4:7], v10, s[14:15] offset:16
	s_load_dwordx2 s[4:5], s[4:5], 0x38
	s_ashr_i32 s17, s16, 31
	s_mov_b64 s[6:7], 64
	s_mov_b32 s10, 0
	s_mov_b32 s11, 0
	s_waitcnt vmcnt(2)
	v_add_u32_e32 v13, 0x6b206574, v3
	v_add_u32_e32 v14, 0x79622d32, v2
	s_waitcnt vmcnt(1)
	v_xor_b32_e32 v15, v9, v13
	v_xor_b32_e32 v16, v8, v14
	v_alignbit_b32 v15, v15, v15, 16
	v_alignbit_b32 v16, v16, v16, 16
	s_waitcnt vmcnt(0)
	v_add_u32_e32 v17, v15, v7
	v_add_u32_e32 v18, v16, v6
	v_xor_b32_e32 v19, v17, v3
	v_xor_b32_e32 v20, v18, v2
	v_alignbit_b32 v19, v19, v19, 20
	v_alignbit_b32 v20, v20, v20, 20
	v_add_u32_e32 v13, v19, v13
	v_add_u32_e32 v21, v20, v14
	v_xor_b32_e32 v14, v13, v15
	v_xor_b32_e32 v15, v21, v16
	v_alignbit_b32 v14, v14, v14, 24
	v_alignbit_b32 v15, v15, v15, 24
	v_add_u32_e32 v16, v14, v17
	v_add_u32_e32 v17, v15, v18
	v_xor_b32_e32 v18, v16, v19
	v_xor_b32_e32 v19, v17, v20
	v_alignbit_b32 v18, v18, v18, 25
	v_add_u32_e32 v11, 0x3320646e, v1
	v_add_u32_e32 v12, 0x61707865, v0
	v_alignbit_b32 v19, v19, v19, 25
	v_add_u32_e32 v20, v18, v21
	v_mov_b32_e32 v21, 0
	s_branch .LBB0_28
.LBB0_27:                               ;   in Loop: Header=BB0_28 Depth=1
	s_waitcnt lgkmcnt(0)
	global_load_ubyte v23, v10, s[4:5]
	v_mov_b32_e32 v24, s7
	v_mov_b32_e32 v25, s6
	buffer_store_dword v24, off, s[0:3], 0 offset:132
	buffer_store_dword v25, off, s[0:3], 0 offset:128
	s_waitcnt vmcnt(2)
	v_xor_b32_e32 v22, v23, v22
	global_store_byte v10, v22, s[4:5]
	s_add_u32 s4, s4, 1
	s_addc_u32 s5, s5, 0
	s_add_u32 s16, s16, -1
	s_addc_u32 s17, s17, -1
	s_cmp_lg_u64 s[16:17], 0
	s_cbranch_scc0 .LBB0_32
.LBB0_28:                               ; =>This Inner Loop Header: Depth=1
	v_cmp_gt_u64_e64 s[8:9], s[6:7], 63
                                        ; implicit-def: $vgpr22
	s_and_b64 vcc, exec, s[8:9]
	s_mov_b64 s[8:9], -1
	s_cbranch_vccnz .LBB0_30
; %bb.29:                               ;   in Loop: Header=BB0_28 Depth=1
	v_mov_b32_e32 v22, s6
	buffer_load_ubyte v22, v22, s[0:3], 0 offen offset:64
	s_add_u32 s6, s6, 1
	s_addc_u32 s7, s7, 0
	s_mov_b64 s[8:9], 0
.LBB0_30:                               ;   in Loop: Header=BB0_28 Depth=1
	s_andn2_b64 vcc, exec, s[8:9]
	s_cbranch_vccnz .LBB0_27
; %bb.31:                               ;   in Loop: Header=BB0_28 Depth=1
	s_waitcnt vmcnt(0)
	v_xor_b32_e32 v22, s11, v11
	v_alignbit_b32 v22, v22, v22, 16
	v_xor_b32_e32 v25, v21, v12
	v_add_u32_e32 v23, v22, v5
	v_alignbit_b32 v25, v25, v25, 16
	v_xor_b32_e32 v24, v23, v1
	v_add_u32_e32 v26, v25, v4
	;; [unrolled: 3-line block ×5, first 2 shown]
	v_xor_b32_e32 v22, v22, v20
	v_alignbit_b32 v30, v25, v25, 24
	v_alignbit_b32 v22, v22, v22, 16
	v_add_u32_e32 v25, v30, v26
	v_xor_b32_e32 v26, v25, v28
	v_add_u32_e32 v28, v22, v25
	v_xor_b32_e32 v25, v28, v18
	v_alignbit_b32 v31, v25, v25, 20
	v_add_u32_e32 v32, v31, v20
	v_xor_b32_e32 v22, v32, v22
	v_alignbit_b32 v25, v22, v22, 24
	v_add_u32_e32 v22, v25, v28
	v_alignbit_b32 v26, v26, v26, 25
	v_xor_b32_e32 v28, v22, v31
	v_add_u32_e32 v31, v26, v13
	v_xor_b32_e32 v33, v31, v15
	v_alignbit_b32 v33, v33, v33, 16
	v_add_u32_e32 v34, v33, v23
	v_xor_b32_e32 v24, v23, v24
	v_xor_b32_e32 v23, v34, v26
	v_alignbit_b32 v26, v23, v23, 20
	v_alignbit_b32 v24, v24, v24, 25
	v_add_u32_e32 v23, v26, v31
	v_add_u32_e32 v29, v24, v29
	v_xor_b32_e32 v31, v23, v33
	v_xor_b32_e32 v33, v29, v14
	v_alignbit_b32 v33, v33, v33, 16
	v_add_u32_e32 v35, v33, v17
	v_xor_b32_e32 v24, v35, v24
	v_alignbit_b32 v36, v24, v24, 20
	v_add_u32_e32 v29, v36, v29
	v_add_u32_e32 v27, v27, v19
	v_xor_b32_e32 v24, v29, v33
	v_xor_b32_e32 v30, v30, v27
	v_alignbit_b32 v24, v24, v24, 24
	v_alignbit_b32 v30, v30, v30, 16
	v_add_u32_e32 v33, v24, v35
	v_add_u32_e32 v35, v30, v16
	v_xor_b32_e32 v37, v35, v19
	v_alignbit_b32 v37, v37, v37, 20
	v_alignbit_b32 v28, v28, v28, 25
	v_add_u32_e32 v38, v37, v27
	v_add_u32_e32 v23, v28, v23
	v_xor_b32_e32 v27, v38, v30
	v_xor_b32_e32 v24, v23, v24
	v_alignbit_b32 v30, v27, v27, 24
	v_alignbit_b32 v24, v24, v24, 16
	v_add_u32_e32 v27, v30, v35
	v_xor_b32_e32 v35, v27, v37
	v_add_u32_e32 v27, v24, v27
	v_xor_b32_e32 v28, v27, v28
	v_alignbit_b32 v28, v28, v28, 20
	v_add_u32_e32 v37, v28, v23
	v_xor_b32_e32 v23, v37, v24
	v_alignbit_b32 v24, v23, v23, 24
	;; [unrolled: 3-line block ×3, first 2 shown]
	v_alignbit_b32 v28, v27, v27, 25
	v_alignbit_b32 v27, v35, v35, 25
	v_add_u32_e32 v34, v31, v34
	v_xor_b32_e32 v35, v33, v36
	v_alignbit_b32 v35, v35, v35, 25
	v_xor_b32_e32 v26, v34, v26
	v_add_u32_e32 v36, v35, v38
	v_alignbit_b32 v26, v26, v26, 25
	v_add_u32_e32 v32, v27, v32
	v_xor_b32_e32 v25, v36, v25
	v_add_u32_e32 v29, v26, v29
	v_xor_b32_e32 v31, v32, v31
	v_alignbit_b32 v25, v25, v25, 16
	v_xor_b32_e32 v30, v29, v30
	v_alignbit_b32 v31, v31, v31, 16
	v_add_u32_e32 v34, v25, v34
	v_alignbit_b32 v30, v30, v30, 16
	v_add_u32_e32 v33, v31, v33
	v_xor_b32_e32 v35, v34, v35
	v_add_u32_e32 v22, v30, v22
	v_xor_b32_e32 v27, v33, v27
	v_alignbit_b32 v35, v35, v35, 20
	v_xor_b32_e32 v26, v22, v26
	v_alignbit_b32 v27, v27, v27, 20
	v_add_u32_e32 v36, v35, v36
	v_alignbit_b32 v26, v26, v26, 20
	v_add_u32_e32 v32, v27, v32
	v_xor_b32_e32 v25, v36, v25
	v_add_u32_e32 v29, v26, v29
	v_xor_b32_e32 v31, v32, v31
	v_add_u32_e32 v32, v28, v32
	v_alignbit_b32 v25, v25, v25, 24
	v_xor_b32_e32 v30, v29, v30
	v_add_u32_e32 v34, v25, v34
	v_xor_b32_e32 v25, v32, v25
	v_alignbit_b32 v30, v30, v30, 24
	v_alignbit_b32 v31, v31, v31, 24
	v_alignbit_b32 v25, v25, v25, 16
	v_add_u32_e32 v22, v30, v22
	v_add_u32_e32 v33, v31, v33
	v_xor_b32_e32 v35, v34, v35
	v_xor_b32_e32 v26, v22, v26
	v_add_u32_e32 v22, v25, v22
	v_alignbit_b32 v35, v35, v35, 25
	v_xor_b32_e32 v27, v33, v27
	v_xor_b32_e32 v28, v22, v28
	v_alignbit_b32 v26, v26, v26, 25
	v_add_u32_e32 v29, v35, v29
	v_alignbit_b32 v27, v27, v27, 25
	v_alignbit_b32 v28, v28, v28, 20
	v_add_u32_e32 v37, v26, v37
	v_xor_b32_e32 v24, v29, v24
	v_add_u32_e32 v36, v27, v36
	v_add_u32_e32 v32, v28, v32
	v_xor_b32_e32 v31, v37, v31
	v_alignbit_b32 v24, v24, v24, 16
	v_xor_b32_e32 v30, v36, v30
	v_xor_b32_e32 v25, v32, v25
	v_alignbit_b32 v31, v31, v31, 16
	v_add_u32_e32 v33, v24, v33
	v_alignbit_b32 v30, v30, v30, 16
	v_alignbit_b32 v25, v25, v25, 24
	v_add_u32_e32 v34, v31, v34
	v_xor_b32_e32 v35, v33, v35
	v_add_u32_e32 v23, v30, v23
	v_add_u32_e32 v22, v25, v22
	v_xor_b32_e32 v26, v34, v26
	v_alignbit_b32 v35, v35, v35, 20
	v_xor_b32_e32 v27, v23, v27
	v_xor_b32_e32 v28, v22, v28
	v_alignbit_b32 v26, v26, v26, 20
	v_add_u32_e32 v29, v35, v29
	v_alignbit_b32 v27, v27, v27, 20
	v_alignbit_b32 v28, v28, v28, 25
	v_add_u32_e32 v37, v26, v37
	v_xor_b32_e32 v24, v29, v24
	v_add_u32_e32 v36, v27, v36
	v_xor_b32_e32 v31, v37, v31
	v_add_u32_e32 v37, v28, v37
	v_alignbit_b32 v24, v24, v24, 24
	v_xor_b32_e32 v30, v36, v30
	v_add_u32_e32 v33, v24, v33
	v_xor_b32_e32 v24, v37, v24
	v_alignbit_b32 v30, v30, v30, 24
	v_alignbit_b32 v31, v31, v31, 24
	v_alignbit_b32 v24, v24, v24, 16
	v_add_u32_e32 v23, v30, v23
	v_add_u32_e32 v34, v31, v34
	v_xor_b32_e32 v35, v33, v35
	v_xor_b32_e32 v27, v23, v27
	v_add_u32_e32 v23, v24, v23
	v_alignbit_b32 v35, v35, v35, 25
	v_xor_b32_e32 v26, v34, v26
	v_xor_b32_e32 v28, v23, v28
	v_alignbit_b32 v27, v27, v27, 25
	v_add_u32_e32 v36, v35, v36
	v_alignbit_b32 v26, v26, v26, 25
	v_alignbit_b32 v28, v28, v28, 20
	v_add_u32_e32 v32, v27, v32
	v_xor_b32_e32 v25, v36, v25
	v_add_u32_e32 v29, v26, v29
	v_add_u32_e32 v37, v28, v37
	v_xor_b32_e32 v31, v32, v31
	v_alignbit_b32 v25, v25, v25, 16
	v_xor_b32_e32 v30, v29, v30
	v_xor_b32_e32 v24, v37, v24
	v_alignbit_b32 v31, v31, v31, 16
	v_add_u32_e32 v34, v25, v34
	v_alignbit_b32 v30, v30, v30, 16
	v_alignbit_b32 v24, v24, v24, 24
	v_add_u32_e32 v33, v31, v33
	v_xor_b32_e32 v35, v34, v35
	v_add_u32_e32 v22, v30, v22
	v_add_u32_e32 v23, v24, v23
	v_xor_b32_e32 v27, v33, v27
	v_alignbit_b32 v35, v35, v35, 20
	v_xor_b32_e32 v26, v22, v26
	v_xor_b32_e32 v28, v23, v28
	v_alignbit_b32 v27, v27, v27, 20
	v_add_u32_e32 v36, v35, v36
	v_alignbit_b32 v26, v26, v26, 20
	;; [unrolled: 48-line block ×13, first 2 shown]
	v_alignbit_b32 v28, v28, v28, 25
	v_add_u32_e32 v37, v26, v37
	v_xor_b32_e32 v24, v29, v24
	v_add_u32_e32 v36, v27, v36
	v_xor_b32_e32 v31, v37, v31
	v_add_u32_e32 v37, v28, v37
	v_alignbit_b32 v24, v24, v24, 24
	v_xor_b32_e32 v30, v36, v30
	v_add_u32_e32 v33, v24, v33
	v_xor_b32_e32 v24, v37, v24
	v_alignbit_b32 v30, v30, v30, 24
	v_alignbit_b32 v24, v24, v24, 16
	v_add_u32_e32 v23, v30, v23
	v_xor_b32_e32 v35, v33, v35
	v_xor_b32_e32 v27, v23, v27
	v_add_u32_e32 v23, v24, v23
	v_alignbit_b32 v35, v35, v35, 25
	v_xor_b32_e32 v28, v23, v28
	v_alignbit_b32 v27, v27, v27, 25
	v_add_u32_e32 v36, v35, v36
	v_alignbit_b32 v28, v28, v28, 20
	v_add_u32_e32 v32, v27, v32
	v_alignbit_b32 v31, v31, v31, 24
	v_xor_b32_e32 v25, v36, v25
	v_add_u32_e32 v37, v28, v37
	v_add_u32_e32 v34, v31, v34
	v_xor_b32_e32 v31, v32, v31
	v_alignbit_b32 v25, v25, v25, 16
	v_xor_b32_e32 v24, v37, v24
	v_alignbit_b32 v31, v31, v31, 16
	v_xor_b32_e32 v26, v34, v26
	v_add_u32_e32 v34, v25, v34
	v_alignbit_b32 v24, v24, v24, 24
	v_add_u32_e32 v33, v31, v33
	v_xor_b32_e32 v35, v34, v35
	v_add_u32_e32 v23, v24, v23
	v_xor_b32_e32 v27, v33, v27
	v_alignbit_b32 v35, v35, v35, 20
	v_xor_b32_e32 v28, v23, v28
	v_alignbit_b32 v27, v27, v27, 20
	v_add_u32_e32 v36, v35, v36
	v_alignbit_b32 v28, v28, v28, 25
	v_add_u32_e32 v32, v27, v32
	v_xor_b32_e32 v25, v36, v25
	v_xor_b32_e32 v31, v32, v31
	v_add_u32_e32 v32, v28, v32
	v_alignbit_b32 v25, v25, v25, 24
	v_add_u32_e32 v34, v25, v34
	v_xor_b32_e32 v25, v32, v25
	v_alignbit_b32 v38, v25, v25, 16
	v_alignbit_b32 v25, v26, v26, 25
	v_add_u32_e32 v26, v25, v29
	v_xor_b32_e32 v29, v26, v30
	v_alignbit_b32 v29, v29, v29, 16
	v_add_u32_e32 v22, v29, v22
	v_xor_b32_e32 v25, v22, v25
	;; [unrolled: 3-line block ×4, first 2 shown]
	v_add_u32_e32 v22, v38, v22
	v_xor_b32_e32 v25, v22, v28
	v_alignbit_b32 v28, v25, v25, 20
	v_add_u32_e32 v25, v28, v32
	v_alignbit_b32 v31, v31, v31, 24
	v_xor_b32_e32 v26, v25, v38
	v_add_u32_e32 v33, v31, v33
	v_alignbit_b32 v32, v26, v26, 24
	v_xor_b32_e32 v35, v34, v35
	v_xor_b32_e32 v27, v33, v27
	v_add_u32_e32 v26, v32, v22
	v_alignbit_b32 v35, v35, v35, 25
	v_alignbit_b32 v27, v27, v27, 25
	v_xor_b32_e32 v22, v26, v28
	v_alignbit_b32 v28, v39, v39, 25
	v_add_u32_e32 v30, v35, v30
	v_add_u32_e32 v36, v27, v36
	;; [unrolled: 1-line block ×3, first 2 shown]
	v_xor_b32_e32 v24, v30, v24
	v_xor_b32_e32 v29, v36, v29
	;; [unrolled: 1-line block ×3, first 2 shown]
	v_alignbit_b32 v24, v24, v24, 16
	v_alignbit_b32 v29, v29, v29, 16
	;; [unrolled: 1-line block ×3, first 2 shown]
	v_add_u32_e32 v33, v24, v33
	v_add_u32_e32 v23, v29, v23
	;; [unrolled: 1-line block ×3, first 2 shown]
	v_xor_b32_e32 v35, v33, v35
	v_xor_b32_e32 v27, v23, v27
	;; [unrolled: 1-line block ×3, first 2 shown]
	v_alignbit_b32 v35, v35, v35, 20
	v_alignbit_b32 v27, v27, v27, 20
	;; [unrolled: 1-line block ×3, first 2 shown]
	v_add_u32_e32 v30, v35, v30
	v_add_u32_e32 v36, v27, v36
	v_alignbit_b32 v22, v22, v22, 25
	v_add_u32_e32 v37, v28, v37
	v_xor_b32_e32 v24, v30, v24
	v_xor_b32_e32 v29, v36, v29
	;; [unrolled: 1-line block ×3, first 2 shown]
	v_add_u32_e32 v37, v22, v37
	v_alignbit_b32 v24, v24, v24, 24
	v_alignbit_b32 v29, v29, v29, 24
	v_add_u32_e32 v33, v24, v33
	v_xor_b32_e32 v24, v37, v24
	v_add_u32_e32 v23, v29, v23
	v_alignbit_b32 v24, v24, v24, 16
	v_xor_b32_e32 v27, v23, v27
	v_add_u32_e32 v23, v24, v23
	v_alignbit_b32 v27, v27, v27, 25
	v_xor_b32_e32 v22, v23, v22
	v_alignbit_b32 v31, v31, v31, 24
	v_add_u32_e32 v25, v27, v25
	v_alignbit_b32 v38, v22, v22, 20
	v_add_u32_e32 v34, v31, v34
	v_xor_b32_e32 v31, v25, v31
	v_add_u32_e32 v37, v38, v37
	v_xor_b32_e32 v28, v34, v28
	v_alignbit_b32 v31, v31, v31, 16
	v_xor_b32_e32 v22, v37, v24
	v_xor_b32_e32 v24, v33, v35
	v_alignbit_b32 v28, v28, v28, 25
	v_add_u32_e32 v33, v31, v33
	v_alignbit_b32 v24, v24, v24, 25
	v_add_u32_e32 v30, v28, v30
	v_xor_b32_e32 v27, v33, v27
	v_add_u32_e32 v35, v24, v36
	v_xor_b32_e32 v29, v30, v29
	v_alignbit_b32 v27, v27, v27, 20
	v_xor_b32_e32 v32, v35, v32
	v_alignbit_b32 v29, v29, v29, 16
	v_add_u32_e32 v25, v27, v25
	v_alignbit_b32 v32, v32, v32, 16
	v_add_u32_e32 v26, v29, v26
	v_xor_b32_e32 v31, v25, v31
	v_add_u32_e32 v34, v32, v34
	v_xor_b32_e32 v28, v26, v28
	v_alignbit_b32 v31, v31, v31, 24
	;; [unrolled: 9-line block ×3, first 2 shown]
	v_xor_b32_e32 v32, v35, v32
	v_alignbit_b32 v29, v29, v29, 24
	v_add_u32_e32 v35, v27, v35
	v_alignbit_b32 v22, v22, v22, 24
	v_add_u32_e32 v26, v29, v26
	v_xor_b32_e32 v29, v35, v29
	v_add_u32_e32 v23, v22, v23
	v_alignbit_b32 v29, v29, v29, 16
	v_xor_b32_e32 v36, v23, v38
	v_add_u32_e32 v23, v29, v23
	v_xor_b32_e32 v27, v23, v27
	v_alignbit_b32 v27, v27, v27, 20
	v_add_u32_e32 v35, v27, v35
	v_xor_b32_e32 v29, v35, v29
	v_add_u32_e32 v35, 0x3320646e, v35
	buffer_store_dword v35, off, s[0:3], 0 offset:68
	v_alignbit_b32 v35, v36, v36, 25
	v_alignbit_b32 v32, v32, v32, 24
	v_add_u32_e32 v25, v35, v25
	v_add_u32_e32 v34, v32, v34
	v_xor_b32_e32 v32, v25, v32
	v_alignbit_b32 v32, v32, v32, 16
	v_xor_b32_e32 v28, v26, v28
	v_add_u32_e32 v26, v32, v26
	v_xor_b32_e32 v35, v26, v35
	v_alignbit_b32 v35, v35, v35, 20
	v_add_u32_e32 v25, v35, v25
	v_xor_b32_e32 v32, v25, v32
	v_add_u32_e32 v25, 0x79622d32, v25
	buffer_store_dword v25, off, s[0:3], 0 offset:72
	v_alignbit_b32 v25, v28, v28, 25
	v_add_u32_e32 v28, v25, v37
	v_xor_b32_e32 v31, v28, v31
	v_alignbit_b32 v31, v31, v31, 16
	v_xor_b32_e32 v24, v34, v24
	v_add_u32_e32 v34, v31, v34
	v_xor_b32_e32 v25, v34, v25
	v_alignbit_b32 v25, v25, v25, 20
	v_add_u32_e32 v28, v25, v28
	v_xor_b32_e32 v31, v28, v31
	v_add_u32_e32 v28, 0x6b206574, v28
	buffer_store_dword v28, off, s[0:3], 0 offset:76
	v_alignbit_b32 v28, v31, v31, 24
	v_add_u32_e32 v31, v28, v34
	v_xor_b32_e32 v25, v31, v25
	v_alignbit_b32 v25, v25, v25, 25
	v_add_u32_e32 v25, v25, v0
	v_alignbit_b32 v24, v24, v24, 25
	buffer_store_dword v25, off, s[0:3], 0 offset:80
	v_add_u32_e32 v25, v24, v30
	v_xor_b32_e32 v22, v25, v22
	v_alignbit_b32 v22, v22, v22, 16
	v_add_u32_e32 v30, v22, v33
	v_xor_b32_e32 v24, v30, v24
	v_alignbit_b32 v24, v24, v24, 20
	;; [unrolled: 3-line block ×4, first 2 shown]
	v_add_u32_e32 v24, v24, v1
	buffer_store_dword v24, off, s[0:3], 0 offset:84
	v_alignbit_b32 v24, v29, v29, 24
	v_add_u32_e32 v23, v24, v23
	v_xor_b32_e32 v27, v23, v27
	v_alignbit_b32 v27, v27, v27, 25
	v_add_u32_e32 v27, v27, v2
	buffer_store_dword v27, off, s[0:3], 0 offset:88
	v_alignbit_b32 v27, v32, v32, 24
	v_add_u32_e32 v26, v27, v26
	v_add_u32_e32 v23, v23, v7
	v_xor_b32_e32 v29, v26, v35
	v_add_u32_e32 v26, v26, v4
	buffer_store_dword v23, off, s[0:3], 0 offset:108
	v_add_u32_e32 v23, v24, v21
	v_add_co_u32_e32 v21, vcc, 1, v21
	s_add_i32 s8, s11, 1
	buffer_store_dword v26, off, s[0:3], 0 offset:96
	v_add_u32_e32 v26, v31, v5
	s_and_b64 s[6:7], vcc, exec
	v_alignbit_b32 v29, v29, v29, 25
	buffer_store_dword v26, off, s[0:3], 0 offset:100
	v_add_u32_e32 v26, v30, v6
	s_cselect_b32 s10, s8, s10
	s_cselect_b32 s8, s8, s11
	v_add_u32_e32 v29, v29, v3
	buffer_store_dword v26, off, s[0:3], 0 offset:104
	buffer_store_dword v23, off, s[0:3], 0 offset:112
	v_add_u32_e32 v23, v22, v9
	v_add_u32_e32 v26, s11, v27
	;; [unrolled: 1-line block ×3, first 2 shown]
	s_mov_b64 s[6:7], 1
	s_mov_b32 s11, s8
	buffer_store_dword v29, off, s[0:3], 0 offset:92
	v_add_u32_e32 v24, v28, v8
	buffer_store_dword v22, off, s[0:3], 0 offset:64
	buffer_store_dword v26, off, s[0:3], 0 offset:116
	;; [unrolled: 1-line block ×4, first 2 shown]
	s_branch .LBB0_27
.LBB0_32:
	s_endpgm
	.section	.rodata,"a",@progbits
	.p2align	6, 0x0
	.amdhsa_kernel _Z15test_keystreamsPKcS0_S0_PKhPhS3_S3_S3_iii
		.amdhsa_group_segment_fixed_size 0
		.amdhsa_private_segment_fixed_size 144
		.amdhsa_kernarg_size 336
		.amdhsa_user_sgpr_count 6
		.amdhsa_user_sgpr_private_segment_buffer 1
		.amdhsa_user_sgpr_dispatch_ptr 0
		.amdhsa_user_sgpr_queue_ptr 0
		.amdhsa_user_sgpr_kernarg_segment_ptr 1
		.amdhsa_user_sgpr_dispatch_id 0
		.amdhsa_user_sgpr_flat_scratch_init 0
		.amdhsa_user_sgpr_private_segment_size 0
		.amdhsa_uses_dynamic_stack 0
		.amdhsa_system_sgpr_private_segment_wavefront_offset 1
		.amdhsa_system_sgpr_workgroup_id_x 1
		.amdhsa_system_sgpr_workgroup_id_y 0
		.amdhsa_system_sgpr_workgroup_id_z 0
		.amdhsa_system_sgpr_workgroup_info 0
		.amdhsa_system_vgpr_workitem_id 0
		.amdhsa_next_free_vgpr 40
		.amdhsa_next_free_sgpr 32
		.amdhsa_reserve_vcc 1
		.amdhsa_reserve_flat_scratch 0
		.amdhsa_float_round_mode_32 0
		.amdhsa_float_round_mode_16_64 0
		.amdhsa_float_denorm_mode_32 3
		.amdhsa_float_denorm_mode_16_64 3
		.amdhsa_dx10_clamp 1
		.amdhsa_ieee_mode 1
		.amdhsa_fp16_overflow 0
		.amdhsa_exception_fp_ieee_invalid_op 0
		.amdhsa_exception_fp_denorm_src 0
		.amdhsa_exception_fp_ieee_div_zero 0
		.amdhsa_exception_fp_ieee_overflow 0
		.amdhsa_exception_fp_ieee_underflow 0
		.amdhsa_exception_fp_ieee_inexact 0
		.amdhsa_exception_int_div_zero 0
	.end_amdhsa_kernel
	.text
.Lfunc_end0:
	.size	_Z15test_keystreamsPKcS0_S0_PKhPhS3_S3_S3_iii, .Lfunc_end0-_Z15test_keystreamsPKcS0_S0_PKhPhS3_S3_S3_iii
                                        ; -- End function
	.set _Z15test_keystreamsPKcS0_S0_PKhPhS3_S3_S3_iii.num_vgpr, 40
	.set _Z15test_keystreamsPKcS0_S0_PKhPhS3_S3_S3_iii.num_agpr, 0
	.set _Z15test_keystreamsPKcS0_S0_PKhPhS3_S3_S3_iii.numbered_sgpr, 32
	.set _Z15test_keystreamsPKcS0_S0_PKhPhS3_S3_S3_iii.num_named_barrier, 0
	.set _Z15test_keystreamsPKcS0_S0_PKhPhS3_S3_S3_iii.private_seg_size, 144
	.set _Z15test_keystreamsPKcS0_S0_PKhPhS3_S3_S3_iii.uses_vcc, 1
	.set _Z15test_keystreamsPKcS0_S0_PKhPhS3_S3_S3_iii.uses_flat_scratch, 0
	.set _Z15test_keystreamsPKcS0_S0_PKhPhS3_S3_S3_iii.has_dyn_sized_stack, 0
	.set _Z15test_keystreamsPKcS0_S0_PKhPhS3_S3_S3_iii.has_recursion, 0
	.set _Z15test_keystreamsPKcS0_S0_PKhPhS3_S3_S3_iii.has_indirect_call, 0
	.section	.AMDGPU.csdata,"",@progbits
; Kernel info:
; codeLenInByte = 8452
; TotalNumSgprs: 36
; NumVgprs: 40
; ScratchSize: 144
; MemoryBound: 0
; FloatMode: 240
; IeeeMode: 1
; LDSByteSize: 0 bytes/workgroup (compile time only)
; SGPRBlocks: 4
; VGPRBlocks: 9
; NumSGPRsForWavesPerEU: 36
; NumVGPRsForWavesPerEU: 40
; Occupancy: 6
; WaveLimiterHint : 1
; COMPUTE_PGM_RSRC2:SCRATCH_EN: 1
; COMPUTE_PGM_RSRC2:USER_SGPR: 6
; COMPUTE_PGM_RSRC2:TRAP_HANDLER: 0
; COMPUTE_PGM_RSRC2:TGID_X_EN: 1
; COMPUTE_PGM_RSRC2:TGID_Y_EN: 0
; COMPUTE_PGM_RSRC2:TGID_Z_EN: 0
; COMPUTE_PGM_RSRC2:TIDIG_COMP_CNT: 0
	.section	.AMDGPU.gpr_maximums,"",@progbits
	.set amdgpu.max_num_vgpr, 0
	.set amdgpu.max_num_agpr, 0
	.set amdgpu.max_num_sgpr, 0
	.section	.AMDGPU.csdata,"",@progbits
	.type	__hip_cuid_8dd846278d7a216d,@object ; @__hip_cuid_8dd846278d7a216d
	.section	.bss,"aw",@nobits
	.globl	__hip_cuid_8dd846278d7a216d
__hip_cuid_8dd846278d7a216d:
	.byte	0                               ; 0x0
	.size	__hip_cuid_8dd846278d7a216d, 1

	.ident	"AMD clang version 22.0.0git (https://github.com/RadeonOpenCompute/llvm-project roc-7.2.4 26084 f58b06dce1f9c15707c5f808fd002e18c2accf7e)"
	.section	".note.GNU-stack","",@progbits
	.addrsig
	.addrsig_sym __hip_cuid_8dd846278d7a216d
	.amdgpu_metadata
---
amdhsa.kernels:
  - .args:
      - .actual_access:  read_only
        .address_space:  global
        .offset:         0
        .size:           8
        .value_kind:     global_buffer
      - .actual_access:  read_only
        .address_space:  global
        .offset:         8
        .size:           8
        .value_kind:     global_buffer
      - .actual_access:  read_only
        .address_space:  global
        .offset:         16
        .size:           8
        .value_kind:     global_buffer
      - .actual_access:  read_only
        .address_space:  global
        .offset:         24
        .size:           8
        .value_kind:     global_buffer
      - .address_space:  global
        .offset:         32
        .size:           8
        .value_kind:     global_buffer
      - .address_space:  global
        .offset:         40
        .size:           8
        .value_kind:     global_buffer
      - .actual_access:  write_only
        .address_space:  global
        .offset:         48
        .size:           8
        .value_kind:     global_buffer
      - .address_space:  global
        .offset:         56
        .size:           8
        .value_kind:     global_buffer
      - .offset:         64
        .size:           4
        .value_kind:     by_value
      - .offset:         68
        .size:           4
        .value_kind:     by_value
      - .offset:         72
        .size:           4
        .value_kind:     by_value
      - .offset:         80
        .size:           4
        .value_kind:     hidden_block_count_x
      - .offset:         84
        .size:           4
        .value_kind:     hidden_block_count_y
      - .offset:         88
        .size:           4
        .value_kind:     hidden_block_count_z
      - .offset:         92
        .size:           2
        .value_kind:     hidden_group_size_x
      - .offset:         94
        .size:           2
        .value_kind:     hidden_group_size_y
      - .offset:         96
        .size:           2
        .value_kind:     hidden_group_size_z
      - .offset:         98
        .size:           2
        .value_kind:     hidden_remainder_x
      - .offset:         100
        .size:           2
        .value_kind:     hidden_remainder_y
      - .offset:         102
        .size:           2
        .value_kind:     hidden_remainder_z
      - .offset:         120
        .size:           8
        .value_kind:     hidden_global_offset_x
      - .offset:         128
        .size:           8
        .value_kind:     hidden_global_offset_y
      - .offset:         136
        .size:           8
        .value_kind:     hidden_global_offset_z
      - .offset:         144
        .size:           2
        .value_kind:     hidden_grid_dims
    .group_segment_fixed_size: 0
    .kernarg_segment_align: 8
    .kernarg_segment_size: 336
    .language:       OpenCL C
    .language_version:
      - 2
      - 0
    .max_flat_workgroup_size: 1024
    .name:           _Z15test_keystreamsPKcS0_S0_PKhPhS3_S3_S3_iii
    .private_segment_fixed_size: 144
    .sgpr_count:     36
    .sgpr_spill_count: 0
    .symbol:         _Z15test_keystreamsPKcS0_S0_PKhPhS3_S3_S3_iii.kd
    .uniform_work_group_size: 1
    .uses_dynamic_stack: false
    .vgpr_count:     40
    .vgpr_spill_count: 0
    .wavefront_size: 64
amdhsa.target:   amdgcn-amd-amdhsa--gfx906
amdhsa.version:
  - 1
  - 2
...

	.end_amdgpu_metadata
